;; amdgpu-corpus repo=ROCm/rocFFT kind=compiled arch=gfx1030 opt=O3
	.text
	.amdgcn_target "amdgcn-amd-amdhsa--gfx1030"
	.amdhsa_code_object_version 6
	.protected	fft_rtc_fwd_len1440_factors_10_16_3_3_wgs_90_tpt_90_halfLds_sp_ip_CI_unitstride_sbrr_R2C_dirReg ; -- Begin function fft_rtc_fwd_len1440_factors_10_16_3_3_wgs_90_tpt_90_halfLds_sp_ip_CI_unitstride_sbrr_R2C_dirReg
	.globl	fft_rtc_fwd_len1440_factors_10_16_3_3_wgs_90_tpt_90_halfLds_sp_ip_CI_unitstride_sbrr_R2C_dirReg
	.p2align	8
	.type	fft_rtc_fwd_len1440_factors_10_16_3_3_wgs_90_tpt_90_halfLds_sp_ip_CI_unitstride_sbrr_R2C_dirReg,@function
fft_rtc_fwd_len1440_factors_10_16_3_3_wgs_90_tpt_90_halfLds_sp_ip_CI_unitstride_sbrr_R2C_dirReg: ; @fft_rtc_fwd_len1440_factors_10_16_3_3_wgs_90_tpt_90_halfLds_sp_ip_CI_unitstride_sbrr_R2C_dirReg
; %bb.0:
	s_clause 0x2
	s_load_dwordx4 s[8:11], s[4:5], 0x0
	s_load_dwordx2 s[2:3], s[4:5], 0x50
	s_load_dwordx2 s[12:13], s[4:5], 0x18
	v_mul_u32_u24_e32 v1, 0x2d9, v0
	v_mov_b32_e32 v3, 0
	v_add_nc_u32_sdwa v5, s6, v1 dst_sel:DWORD dst_unused:UNUSED_PAD src0_sel:DWORD src1_sel:WORD_1
	v_mov_b32_e32 v1, 0
	v_mov_b32_e32 v6, v3
	v_mov_b32_e32 v2, 0
	s_waitcnt lgkmcnt(0)
	v_cmp_lt_u64_e64 s0, s[10:11], 2
	s_and_b32 vcc_lo, exec_lo, s0
	s_cbranch_vccnz .LBB0_8
; %bb.1:
	s_load_dwordx2 s[0:1], s[4:5], 0x10
	v_mov_b32_e32 v1, 0
	s_add_u32 s6, s12, 8
	v_mov_b32_e32 v2, 0
	s_addc_u32 s7, s13, 0
	s_mov_b64 s[16:17], 1
	s_waitcnt lgkmcnt(0)
	s_add_u32 s14, s0, 8
	s_addc_u32 s15, s1, 0
.LBB0_2:                                ; =>This Inner Loop Header: Depth=1
	s_load_dwordx2 s[18:19], s[14:15], 0x0
                                        ; implicit-def: $vgpr7_vgpr8
	s_mov_b32 s0, exec_lo
	s_waitcnt lgkmcnt(0)
	v_or_b32_e32 v4, s19, v6
	v_cmpx_ne_u64_e32 0, v[3:4]
	s_xor_b32 s1, exec_lo, s0
	s_cbranch_execz .LBB0_4
; %bb.3:                                ;   in Loop: Header=BB0_2 Depth=1
	v_cvt_f32_u32_e32 v4, s18
	v_cvt_f32_u32_e32 v7, s19
	s_sub_u32 s0, 0, s18
	s_subb_u32 s20, 0, s19
	v_fmac_f32_e32 v4, 0x4f800000, v7
	v_rcp_f32_e32 v4, v4
	v_mul_f32_e32 v4, 0x5f7ffffc, v4
	v_mul_f32_e32 v7, 0x2f800000, v4
	v_trunc_f32_e32 v7, v7
	v_fmac_f32_e32 v4, 0xcf800000, v7
	v_cvt_u32_f32_e32 v7, v7
	v_cvt_u32_f32_e32 v4, v4
	v_mul_lo_u32 v8, s0, v7
	v_mul_hi_u32 v9, s0, v4
	v_mul_lo_u32 v10, s20, v4
	v_add_nc_u32_e32 v8, v9, v8
	v_mul_lo_u32 v9, s0, v4
	v_add_nc_u32_e32 v8, v8, v10
	v_mul_hi_u32 v10, v4, v9
	v_mul_lo_u32 v11, v4, v8
	v_mul_hi_u32 v12, v4, v8
	v_mul_hi_u32 v13, v7, v9
	v_mul_lo_u32 v9, v7, v9
	v_mul_hi_u32 v14, v7, v8
	v_mul_lo_u32 v8, v7, v8
	v_add_co_u32 v10, vcc_lo, v10, v11
	v_add_co_ci_u32_e32 v11, vcc_lo, 0, v12, vcc_lo
	v_add_co_u32 v9, vcc_lo, v10, v9
	v_add_co_ci_u32_e32 v9, vcc_lo, v11, v13, vcc_lo
	v_add_co_ci_u32_e32 v10, vcc_lo, 0, v14, vcc_lo
	v_add_co_u32 v8, vcc_lo, v9, v8
	v_add_co_ci_u32_e32 v9, vcc_lo, 0, v10, vcc_lo
	v_add_co_u32 v4, vcc_lo, v4, v8
	v_add_co_ci_u32_e32 v7, vcc_lo, v7, v9, vcc_lo
	v_mul_hi_u32 v8, s0, v4
	v_mul_lo_u32 v10, s20, v4
	v_mul_lo_u32 v9, s0, v7
	v_add_nc_u32_e32 v8, v8, v9
	v_mul_lo_u32 v9, s0, v4
	v_add_nc_u32_e32 v8, v8, v10
	v_mul_hi_u32 v10, v4, v9
	v_mul_lo_u32 v11, v4, v8
	v_mul_hi_u32 v12, v4, v8
	v_mul_hi_u32 v13, v7, v9
	v_mul_lo_u32 v9, v7, v9
	v_mul_hi_u32 v14, v7, v8
	v_mul_lo_u32 v8, v7, v8
	v_add_co_u32 v10, vcc_lo, v10, v11
	v_add_co_ci_u32_e32 v11, vcc_lo, 0, v12, vcc_lo
	v_add_co_u32 v9, vcc_lo, v10, v9
	v_add_co_ci_u32_e32 v9, vcc_lo, v11, v13, vcc_lo
	v_add_co_ci_u32_e32 v10, vcc_lo, 0, v14, vcc_lo
	v_add_co_u32 v8, vcc_lo, v9, v8
	v_add_co_ci_u32_e32 v9, vcc_lo, 0, v10, vcc_lo
	v_add_co_u32 v4, vcc_lo, v4, v8
	v_add_co_ci_u32_e32 v11, vcc_lo, v7, v9, vcc_lo
	v_mul_hi_u32 v13, v5, v4
	v_mad_u64_u32 v[9:10], null, v6, v4, 0
	v_mad_u64_u32 v[7:8], null, v5, v11, 0
	;; [unrolled: 1-line block ×3, first 2 shown]
	v_add_co_u32 v4, vcc_lo, v13, v7
	v_add_co_ci_u32_e32 v7, vcc_lo, 0, v8, vcc_lo
	v_add_co_u32 v4, vcc_lo, v4, v9
	v_add_co_ci_u32_e32 v4, vcc_lo, v7, v10, vcc_lo
	v_add_co_ci_u32_e32 v7, vcc_lo, 0, v12, vcc_lo
	v_add_co_u32 v4, vcc_lo, v4, v11
	v_add_co_ci_u32_e32 v9, vcc_lo, 0, v7, vcc_lo
	v_mul_lo_u32 v10, s19, v4
	v_mad_u64_u32 v[7:8], null, s18, v4, 0
	v_mul_lo_u32 v11, s18, v9
	v_sub_co_u32 v7, vcc_lo, v5, v7
	v_add3_u32 v8, v8, v11, v10
	v_sub_nc_u32_e32 v10, v6, v8
	v_subrev_co_ci_u32_e64 v10, s0, s19, v10, vcc_lo
	v_add_co_u32 v11, s0, v4, 2
	v_add_co_ci_u32_e64 v12, s0, 0, v9, s0
	v_sub_co_u32 v13, s0, v7, s18
	v_sub_co_ci_u32_e32 v8, vcc_lo, v6, v8, vcc_lo
	v_subrev_co_ci_u32_e64 v10, s0, 0, v10, s0
	v_cmp_le_u32_e32 vcc_lo, s18, v13
	v_cmp_eq_u32_e64 s0, s19, v8
	v_cndmask_b32_e64 v13, 0, -1, vcc_lo
	v_cmp_le_u32_e32 vcc_lo, s19, v10
	v_cndmask_b32_e64 v14, 0, -1, vcc_lo
	v_cmp_le_u32_e32 vcc_lo, s18, v7
	;; [unrolled: 2-line block ×3, first 2 shown]
	v_cndmask_b32_e64 v15, 0, -1, vcc_lo
	v_cmp_eq_u32_e32 vcc_lo, s19, v10
	v_cndmask_b32_e64 v7, v15, v7, s0
	v_cndmask_b32_e32 v10, v14, v13, vcc_lo
	v_add_co_u32 v13, vcc_lo, v4, 1
	v_add_co_ci_u32_e32 v14, vcc_lo, 0, v9, vcc_lo
	v_cmp_ne_u32_e32 vcc_lo, 0, v10
	v_cndmask_b32_e32 v8, v14, v12, vcc_lo
	v_cndmask_b32_e32 v10, v13, v11, vcc_lo
	v_cmp_ne_u32_e32 vcc_lo, 0, v7
	v_cndmask_b32_e32 v8, v9, v8, vcc_lo
	v_cndmask_b32_e32 v7, v4, v10, vcc_lo
.LBB0_4:                                ;   in Loop: Header=BB0_2 Depth=1
	s_andn2_saveexec_b32 s0, s1
	s_cbranch_execz .LBB0_6
; %bb.5:                                ;   in Loop: Header=BB0_2 Depth=1
	v_cvt_f32_u32_e32 v4, s18
	s_sub_i32 s1, 0, s18
	v_rcp_iflag_f32_e32 v4, v4
	v_mul_f32_e32 v4, 0x4f7ffffe, v4
	v_cvt_u32_f32_e32 v4, v4
	v_mul_lo_u32 v7, s1, v4
	v_mul_hi_u32 v7, v4, v7
	v_add_nc_u32_e32 v4, v4, v7
	v_mul_hi_u32 v4, v5, v4
	v_mul_lo_u32 v7, v4, s18
	v_add_nc_u32_e32 v8, 1, v4
	v_sub_nc_u32_e32 v7, v5, v7
	v_subrev_nc_u32_e32 v9, s18, v7
	v_cmp_le_u32_e32 vcc_lo, s18, v7
	v_cndmask_b32_e32 v7, v7, v9, vcc_lo
	v_cndmask_b32_e32 v4, v4, v8, vcc_lo
	v_cmp_le_u32_e32 vcc_lo, s18, v7
	v_add_nc_u32_e32 v8, 1, v4
	v_cndmask_b32_e32 v7, v4, v8, vcc_lo
	v_mov_b32_e32 v8, v3
.LBB0_6:                                ;   in Loop: Header=BB0_2 Depth=1
	s_or_b32 exec_lo, exec_lo, s0
	s_load_dwordx2 s[0:1], s[6:7], 0x0
	v_mul_lo_u32 v4, v8, s18
	v_mul_lo_u32 v11, v7, s19
	v_mad_u64_u32 v[9:10], null, v7, s18, 0
	s_add_u32 s16, s16, 1
	s_addc_u32 s17, s17, 0
	s_add_u32 s6, s6, 8
	s_addc_u32 s7, s7, 0
	;; [unrolled: 2-line block ×3, first 2 shown]
	v_add3_u32 v4, v10, v11, v4
	v_sub_co_u32 v5, vcc_lo, v5, v9
	v_sub_co_ci_u32_e32 v4, vcc_lo, v6, v4, vcc_lo
	s_waitcnt lgkmcnt(0)
	v_mul_lo_u32 v6, s1, v5
	v_mul_lo_u32 v4, s0, v4
	v_mad_u64_u32 v[1:2], null, s0, v5, v[1:2]
	v_cmp_ge_u64_e64 s0, s[16:17], s[10:11]
	s_and_b32 vcc_lo, exec_lo, s0
	v_add3_u32 v2, v6, v2, v4
	s_cbranch_vccnz .LBB0_9
; %bb.7:                                ;   in Loop: Header=BB0_2 Depth=1
	v_mov_b32_e32 v5, v7
	v_mov_b32_e32 v6, v8
	s_branch .LBB0_2
.LBB0_8:
	v_mov_b32_e32 v8, v6
	v_mov_b32_e32 v7, v5
.LBB0_9:
	s_lshl_b64 s[0:1], s[10:11], 3
	v_mul_hi_u32 v3, 0x2d82d83, v0
	s_add_u32 s0, s12, s0
	s_addc_u32 s1, s13, s1
	s_load_dwordx2 s[0:1], s[0:1], 0x0
	s_load_dwordx2 s[4:5], s[4:5], 0x20
	v_mul_u32_u24_e32 v3, 0x5a, v3
	v_sub_nc_u32_e32 v40, v0, v3
	v_add_nc_u32_e32 v44, 0x5a, v40
	s_waitcnt lgkmcnt(0)
	v_mul_lo_u32 v4, s0, v8
	v_mul_lo_u32 v5, s1, v7
	v_mad_u64_u32 v[1:2], null, s0, v7, v[1:2]
	v_cmp_gt_u64_e32 vcc_lo, s[4:5], v[7:8]
	v_cmp_le_u64_e64 s0, s[4:5], v[7:8]
	v_add3_u32 v2, v5, v2, v4
	s_and_saveexec_b32 s1, s0
	s_xor_b32 s0, exec_lo, s1
; %bb.10:
	v_add_nc_u32_e32 v44, 0x5a, v40
; %bb.11:
	s_or_saveexec_b32 s1, s0
	v_lshlrev_b64 v[42:43], 3, v[1:2]
	v_lshl_add_u32 v46, v40, 3, 0
	s_xor_b32 exec_lo, exec_lo, s1
	s_cbranch_execz .LBB0_13
; %bb.12:
	v_mov_b32_e32 v41, 0
	v_add_co_u32 v2, s0, s2, v42
	v_add_co_ci_u32_e64 v3, s0, s3, v43, s0
	v_lshlrev_b64 v[0:1], 3, v[40:41]
	v_add_nc_u32_e32 v32, 0x400, v46
	v_add_nc_u32_e32 v33, 0x800, v46
	;; [unrolled: 1-line block ×5, first 2 shown]
	v_add_co_u32 v0, s0, v2, v0
	v_add_co_ci_u32_e64 v1, s0, v3, v1, s0
	v_add_nc_u32_e32 v37, 0x2000, v46
	v_add_co_u32 v2, s0, 0x800, v0
	v_add_co_ci_u32_e64 v3, s0, 0, v1, s0
	v_add_co_u32 v4, s0, 0x1000, v0
	v_add_co_ci_u32_e64 v5, s0, 0, v1, s0
	v_add_co_u32 v20, s0, 0x1800, v0
	v_add_co_ci_u32_e64 v21, s0, 0, v1, s0
	v_add_co_u32 v22, s0, 0x2000, v0
	v_add_co_ci_u32_e64 v23, s0, 0, v1, s0
	s_clause 0x7
	global_load_dwordx2 v[6:7], v[0:1], off
	global_load_dwordx2 v[8:9], v[0:1], off offset:720
	global_load_dwordx2 v[10:11], v[0:1], off offset:1440
	;; [unrolled: 1-line block ×7, first 2 shown]
	v_add_co_u32 v0, s0, 0x2800, v0
	v_add_co_ci_u32_e64 v1, s0, 0, v1, s0
	s_clause 0x7
	global_load_dwordx2 v[4:5], v[4:5], off offset:1664
	global_load_dwordx2 v[24:25], v[20:21], off offset:336
	;; [unrolled: 1-line block ×8, first 2 shown]
	v_add_nc_u32_e32 v38, 0x2400, v46
	s_waitcnt vmcnt(14)
	ds_write2_b64 v46, v[6:7], v[8:9] offset1:90
	s_waitcnt vmcnt(12)
	ds_write2_b64 v32, v[10:11], v[12:13] offset0:52 offset1:142
	s_waitcnt vmcnt(10)
	ds_write2_b64 v33, v[14:15], v[2:3] offset0:104 offset1:194
	;; [unrolled: 2-line block ×7, first 2 shown]
.LBB0_13:
	s_or_b32 exec_lo, exec_lo, s1
	v_add_nc_u32_e32 v41, 0xc00, v46
	v_add_nc_u32_e32 v49, 0x1400, v46
	;; [unrolled: 1-line block ×4, first 2 shown]
	s_waitcnt lgkmcnt(0)
	s_barrier
	buffer_gl0_inv
	ds_read2_b64 v[12:15], v41 offset0:48 offset1:138
	ds_read2_b64 v[8:11], v49 offset0:80 offset1:170
	;; [unrolled: 1-line block ×4, first 2 shown]
	v_add_nc_u32_e32 v16, 0x800, v46
	v_add_nc_u32_e32 v45, 0x1000, v46
	;; [unrolled: 1-line block ×4, first 2 shown]
	ds_read2_b64 v[32:35], v16 offset0:32 offset1:122
	ds_read2_b64 v[24:27], v45 offset0:64 offset1:154
	;; [unrolled: 1-line block ×5, first 2 shown]
	ds_read2_b64 v[36:39], v46 offset1:90
	s_waitcnt lgkmcnt(0)
	s_barrier
	buffer_gl0_inv
	s_mov_b32 s1, exec_lo
	v_sub_f32_e32 v52, v12, v8
	v_add_f32_e32 v50, v8, v4
	v_sub_f32_e32 v51, v13, v1
	v_add_f32_e32 v57, v9, v5
	v_sub_f32_e32 v53, v0, v4
	v_sub_f32_e32 v59, v9, v5
	v_fma_f32 v58, -0.5, v50, v28
	v_sub_f32_e32 v60, v12, v0
	v_fma_f32 v57, -0.5, v57, v29
	v_sub_f32_e32 v54, v13, v9
	v_sub_f32_e32 v55, v1, v5
	v_fmamk_f32 v61, v51, 0x3f737871, v58
	v_sub_f32_e32 v62, v8, v4
	v_add_f32_e32 v63, v36, v32
	v_add_f32_e32 v52, v52, v53
	v_fmamk_f32 v53, v60, 0xbf737871, v57
	v_fmac_f32_e32 v61, 0x3f167918, v59
	v_sub_f32_e32 v64, v33, v25
	v_add_f32_e32 v54, v54, v55
	v_add_f32_e32 v55, v63, v24
	v_fmac_f32_e32 v53, 0xbf167918, v62
	v_fmac_f32_e32 v61, 0x3e9e377a, v52
	v_sub_f32_e32 v63, v17, v21
	v_add_f32_e32 v65, v37, v33
	v_sub_f32_e32 v56, v32, v24
	v_fmac_f32_e32 v53, 0x3e9e377a, v54
	v_mul_f32_e32 v66, 0x3f4f1bbd, v61
	v_mul_f32_e32 v61, 0xbf167918, v61
	v_add_f32_e32 v63, v64, v63
	v_add_f32_e32 v64, v32, v16
	v_sub_f32_e32 v50, v16, v20
	v_add_f32_e32 v55, v55, v20
	v_fmac_f32_e32 v66, 0x3f167918, v53
	v_fmac_f32_e32 v61, 0x3f4f1bbd, v53
	v_add_f32_e32 v53, v65, v25
	v_add_f32_e32 v65, v28, v12
	v_sub_f32_e32 v68, v25, v21
	v_fma_f32 v64, -0.5, v64, v36
	v_sub_f32_e32 v69, v24, v32
	v_sub_f32_e32 v70, v20, v16
	v_add_f32_e32 v56, v56, v50
	v_add_f32_e32 v50, v55, v16
	v_sub_f32_e32 v55, v33, v17
	v_add_f32_e32 v65, v65, v8
	v_fmamk_f32 v71, v68, 0xbf737871, v64
	v_fmac_f32_e32 v64, 0x3f737871, v68
	v_add_f32_e32 v69, v69, v70
	v_sub_f32_e32 v70, v32, v16
	v_add_f32_e32 v16, v33, v17
	v_sub_f32_e32 v32, v25, v33
	v_add_f32_e32 v33, v12, v0
	v_add_f32_e32 v67, v29, v13
	;; [unrolled: 1-line block ×3, first 2 shown]
	v_fmac_f32_e32 v71, 0x3f167918, v55
	v_fmac_f32_e32 v64, 0xbf167918, v55
	v_sub_f32_e32 v8, v8, v12
	v_sub_f32_e32 v4, v4, v0
	v_fma_f32 v12, -0.5, v33, v28
	v_add_f32_e32 v53, v53, v21
	v_add_f32_e32 v67, v67, v9
	v_sub_f32_e32 v72, v24, v20
	v_fmac_f32_e32 v71, 0x3e9e377a, v69
	v_fmac_f32_e32 v64, 0x3e9e377a, v69
	v_fma_f32 v69, -0.5, v16, v37
	v_add_f32_e32 v4, v8, v4
	v_fmamk_f32 v8, v59, 0xbf737871, v12
	v_fmac_f32_e32 v12, 0x3f737871, v59
	v_add_f32_e32 v67, v67, v5
	v_add_f32_e32 v53, v53, v17
	v_sub_f32_e32 v17, v21, v17
	v_fmamk_f32 v28, v72, 0x3f737871, v69
	v_fmac_f32_e32 v69, 0xbf737871, v72
	v_fmac_f32_e32 v8, 0x3f167918, v51
	;; [unrolled: 1-line block ×3, first 2 shown]
	v_add_f32_e32 v16, v32, v17
	v_add_f32_e32 v0, v65, v0
	v_fmac_f32_e32 v28, 0xbf167918, v70
	v_fmac_f32_e32 v69, 0x3f167918, v70
	v_add_f32_e32 v33, v67, v1
	v_fmac_f32_e32 v8, 0x3e9e377a, v4
	v_fmac_f32_e32 v12, 0x3e9e377a, v4
	v_sub_f32_e32 v4, v5, v1
	v_add_f32_e32 v1, v13, v1
	v_fmac_f32_e32 v28, 0x3e9e377a, v16
	v_fmac_f32_e32 v69, 0x3e9e377a, v16
	v_add_f32_e32 v16, v50, v0
	v_sub_f32_e32 v32, v50, v0
	v_sub_f32_e32 v0, v9, v13
	v_fma_f32 v1, -0.5, v1, v29
	v_fmac_f32_e32 v58, 0xbf737871, v51
	v_fmac_f32_e32 v57, 0x3f737871, v60
	v_add_f32_e32 v17, v53, v33
	v_add_f32_e32 v0, v0, v4
	v_fmamk_f32 v4, v62, 0x3f737871, v1
	v_fmac_f32_e32 v1, 0xbf737871, v62
	v_fmac_f32_e32 v58, 0xbf167918, v59
	;; [unrolled: 1-line block ×3, first 2 shown]
	v_sub_f32_e32 v33, v53, v33
	v_fmac_f32_e32 v4, 0xbf167918, v60
	v_fmac_f32_e32 v1, 0x3f167918, v60
	;; [unrolled: 1-line block ×4, first 2 shown]
	v_mul_f32_e32 v53, 0xbf737871, v8
	v_fmac_f32_e32 v4, 0x3e9e377a, v0
	v_fmac_f32_e32 v1, 0x3e9e377a, v0
	v_mul_f32_e32 v0, 0x3e9e377a, v12
	v_mul_f32_e32 v9, 0x3f4f1bbd, v57
	v_mad_u32_u24 v50, 0x48, v40, v46
	v_mul_f32_e32 v29, 0x3f737871, v4
	v_fmac_f32_e32 v53, 0x3e9e377a, v4
	v_fma_f32 v65, 0x3f737871, v1, -v0
	v_mul_f32_e32 v0, 0x3e9e377a, v1
	v_fma_f32 v52, 0xbf167918, v58, -v9
	v_fmac_f32_e32 v29, 0x3e9e377a, v8
	v_mul_f32_e32 v8, 0x3f4f1bbd, v58
	v_add_f32_e32 v5, v28, v53
	v_fma_f32 v67, 0xbf737871, v12, -v0
	v_add_f32_e32 v0, v24, v20
	v_add_f32_e32 v4, v71, v29
	v_fma_f32 v51, 0x3f167918, v57, -v8
	v_add_f32_e32 v8, v64, v65
	v_add_f32_e32 v9, v69, v67
	v_fma_f32 v36, -0.5, v0, v36
	v_add_f32_e32 v0, v25, v21
	v_sub_f32_e32 v24, v71, v29
	v_sub_f32_e32 v25, v28, v53
	;; [unrolled: 1-line block ×3, first 2 shown]
	v_fmamk_f32 v12, v55, 0x3f737871, v36
	v_fma_f32 v37, -0.5, v0, v37
	v_fmac_f32_e32 v36, 0xbf737871, v55
	v_sub_f32_e32 v29, v69, v67
	v_sub_f32_e32 v60, v11, v7
	v_fmac_f32_e32 v12, 0x3f167918, v68
	v_fmamk_f32 v13, v70, 0xbf737871, v37
	v_fmac_f32_e32 v37, 0x3f737871, v70
	v_fmac_f32_e32 v36, 0xbf167918, v68
	v_sub_f32_e32 v62, v35, v19
	v_fmac_f32_e32 v12, 0x3e9e377a, v56
	v_fmac_f32_e32 v13, 0xbf167918, v72
	;; [unrolled: 1-line block ×4, first 2 shown]
	v_sub_f32_e32 v56, v10, v6
	v_add_f32_e32 v0, v12, v66
	v_fmac_f32_e32 v13, 0x3e9e377a, v63
	v_fmac_f32_e32 v37, 0x3e9e377a, v63
	v_add_f32_e32 v20, v36, v51
	v_sub_f32_e32 v12, v12, v66
	v_sub_f32_e32 v36, v36, v51
	v_add_f32_e32 v1, v13, v61
	v_add_f32_e32 v21, v37, v52
	v_sub_f32_e32 v13, v13, v61
	v_sub_f32_e32 v37, v37, v52
	ds_write2_b64 v50, v[16:17], v[0:1] offset1:1
	ds_write2_b64 v50, v[4:5], v[8:9] offset0:2 offset1:3
	ds_write2_b64 v50, v[20:21], v[32:33] offset0:4 offset1:5
	ds_write2_b64 v50, v[12:13], v[24:25] offset0:6 offset1:7
	ds_write2_b64 v50, v[28:29], v[36:37] offset0:8 offset1:9
	v_sub_f32_e32 v0, v34, v26
	v_sub_f32_e32 v1, v18, v22
	;; [unrolled: 1-line block ×6, first 2 shown]
	v_add_f32_e32 v16, v0, v1
	v_add_f32_e32 v0, v10, v6
	;; [unrolled: 1-line block ×3, first 2 shown]
	v_sub_f32_e32 v5, v15, v11
	v_add_f32_e32 v36, v8, v9
	v_sub_f32_e32 v8, v3, v7
	v_fma_f32 v57, -0.5, v0, v30
	v_add_f32_e32 v0, v11, v7
	v_sub_f32_e32 v1, v10, v14
	v_sub_f32_e32 v4, v6, v2
	v_add_f32_e32 v54, v5, v8
	v_add_f32_e32 v5, v14, v2
	v_fma_f32 v59, -0.5, v0, v31
	v_add_f32_e32 v0, v15, v3
	v_sub_f32_e32 v12, v27, v35
	v_sub_f32_e32 v17, v23, v19
	;; [unrolled: 1-line block ×4, first 2 shown]
	v_fma_f32 v53, -0.5, v0, v31
	v_add_f32_e32 v32, v1, v4
	v_sub_f32_e32 v1, v11, v15
	v_sub_f32_e32 v52, v14, v2
	v_fma_f32 v58, -0.5, v5, v30
	v_sub_f32_e32 v0, v7, v3
	v_fmamk_f32 v8, v56, 0x3f737871, v53
	v_add_f32_e32 v9, v12, v17
	v_add_f32_e32 v51, v20, v21
	v_sub_f32_e32 v17, v15, v3
	v_fmamk_f32 v21, v60, 0xbf737871, v58
	v_add_f32_e32 v55, v1, v0
	v_fmac_f32_e32 v8, 0xbf167918, v52
	v_fmamk_f32 v5, v52, 0xbf737871, v59
	v_fmamk_f32 v4, v17, 0x3f737871, v57
	v_fmac_f32_e32 v21, 0x3f167918, v17
	v_add_f32_e32 v20, v26, v22
	v_fmac_f32_e32 v8, 0x3e9e377a, v55
	v_fmac_f32_e32 v5, 0xbf167918, v56
	;; [unrolled: 1-line block ×4, first 2 shown]
	v_add_f32_e32 v24, v34, v18
	v_mul_f32_e32 v1, 0x3f737871, v8
	v_fmac_f32_e32 v5, 0x3e9e377a, v54
	v_fmac_f32_e32 v4, 0x3e9e377a, v51
	v_mul_f32_e32 v12, 0xbf737871, v21
	v_fma_f32 v33, -0.5, v20, v38
	v_fmac_f32_e32 v1, 0x3e9e377a, v21
	v_add_f32_e32 v21, v27, v23
	v_mul_f32_e32 v0, 0x3f4f1bbd, v4
	v_mul_f32_e32 v4, 0xbf167918, v4
	v_fma_f32 v20, -0.5, v24, v38
	v_sub_f32_e32 v63, v27, v23
	v_fma_f32 v66, -0.5, v21, v39
	v_add_f32_e32 v21, v35, v19
	v_sub_f32_e32 v64, v34, v18
	v_sub_f32_e32 v65, v26, v22
	v_fmac_f32_e32 v0, 0x3f167918, v5
	v_fmac_f32_e32 v4, 0x3f4f1bbd, v5
	v_fma_f32 v61, -0.5, v21, v39
	v_fmac_f32_e32 v12, 0x3e9e377a, v8
	v_fmamk_f32 v8, v62, 0x3f737871, v33
	v_fmamk_f32 v5, v63, 0xbf737871, v20
	;; [unrolled: 1-line block ×4, first 2 shown]
	v_fmac_f32_e32 v8, 0x3f167918, v63
	v_fmac_f32_e32 v5, 0x3f167918, v62
	;; [unrolled: 1-line block ×8, first 2 shown]
	v_sub_f32_e32 v24, v8, v0
	v_sub_f32_e32 v28, v5, v1
	;; [unrolled: 1-line block ×4, first 2 shown]
	v_cmpx_gt_u32_e32 54, v40
	s_cbranch_execz .LBB0_15
; %bb.14:
	v_mul_f32_e32 v67, 0x3f737871, v64
	v_mul_f32_e32 v51, 0x3e9e377a, v51
	v_add_f32_e32 v15, v31, v15
	v_mul_f32_e32 v55, 0x3e9e377a, v55
	v_mul_f32_e32 v54, 0x3e9e377a, v54
	v_add_f32_e32 v66, v66, v67
	;; [unrolled: 3-line block ×3, first 2 shown]
	v_mul_f32_e32 v32, 0x3e9e377a, v32
	v_add_f32_e32 v35, v39, v35
	v_sub_f32_e32 v57, v57, v67
	v_mul_f32_e32 v67, 0x3f737871, v52
	v_mul_f32_e32 v52, 0x3f167918, v52
	v_add_f32_e32 v7, v11, v7
	v_add_f32_e32 v11, v38, v34
	;; [unrolled: 1-line block ×4, first 2 shown]
	v_mul_f32_e32 v67, 0x3f167918, v65
	v_mul_f32_e32 v64, 0x3f167918, v64
	v_add_f32_e32 v11, v11, v26
	v_add_f32_e32 v10, v14, v10
	v_mul_f32_e32 v13, 0x3e9e377a, v13
	v_add_f32_e32 v66, v67, v66
	v_mul_f32_e32 v67, 0x3f167918, v60
	v_add_f32_e32 v11, v11, v22
	v_add_f32_e32 v6, v10, v6
	v_mul_f32_e32 v36, 0x3e9e377a, v36
	v_mul_f32_e32 v16, 0x3e9e377a, v16
	v_sub_f32_e32 v57, v57, v67
	v_mul_f32_e32 v67, 0x3f167918, v56
	v_mul_f32_e32 v56, 0x3f737871, v56
	v_add_f32_e32 v18, v11, v18
	v_add_f32_e32 v2, v6, v2
	;; [unrolled: 1-line block ×3, first 2 shown]
	v_mul_f32_e32 v57, 0x3f737871, v60
	v_mul_f32_e32 v60, 0x3f737871, v63
	v_add_f32_e32 v59, v67, v59
	v_add_f32_e32 v36, v36, v66
	v_mul_f32_e32 v10, 0x3f4f1bbd, v51
	v_add_f32_e32 v57, v57, v58
	v_mul_f32_e32 v58, 0x3f167918, v63
	v_mul_f32_e32 v63, 0x3f737871, v65
	;; [unrolled: 1-line block ×3, first 2 shown]
	v_sub_f32_e32 v9, v53, v56
	v_sub_f32_e32 v17, v57, v17
	v_add_f32_e32 v54, v54, v59
	v_mul_f32_e32 v59, 0x3f737871, v62
	v_mul_f32_e32 v62, 0x3f167918, v62
	v_add_f32_e32 v9, v52, v9
	v_add_f32_e32 v17, v32, v17
	v_sub_f32_e32 v39, v61, v63
	v_add_f32_e32 v14, v60, v20
	v_sub_f32_e32 v30, v33, v59
	v_add_f32_e32 v31, v55, v9
	v_add_f32_e32 v9, v35, v27
	;; [unrolled: 1-line block ×3, first 2 shown]
	v_sub_f32_e32 v14, v14, v62
	v_mul_f32_e32 v53, 0x3f4f1bbd, v54
	v_mul_f32_e32 v15, 0x3e9e377a, v31
	v_add_f32_e32 v23, v9, v23
	v_sub_f32_e32 v20, v30, v58
	v_add_f32_e32 v27, v65, v27
	v_add_f32_e32 v26, v13, v14
	v_fma_f32 v15, 0xbf737871, v17, -v15
	v_mul_f32_e32 v17, 0x3e9e377a, v17
	v_add_f32_e32 v19, v23, v19
	v_add_f32_e32 v23, v7, v3
	v_fma_f32 v53, 0xbf167918, v51, -v53
	v_add_f32_e32 v20, v16, v20
	v_fma_f32 v30, 0x3f737871, v31, -v17
	v_add_f32_e32 v17, v21, v4
	v_mul_i32_i24_e32 v4, 10, v44
	v_fma_f32 v22, 0x3f167918, v54, -v10
	v_sub_f32_e32 v7, v19, v23
	v_sub_f32_e32 v6, v18, v2
	v_add_f32_e32 v19, v19, v23
	v_add_f32_e32 v16, v8, v0
	;; [unrolled: 1-line block ×3, first 2 shown]
	v_lshl_add_u32 v0, v4, 3, 0
	v_sub_f32_e32 v3, v27, v15
	v_add_f32_e32 v13, v27, v15
	v_add_f32_e32 v15, v37, v12
	;; [unrolled: 1-line block ×6, first 2 shown]
	v_sub_f32_e32 v9, v36, v53
	v_sub_f32_e32 v8, v20, v22
	;; [unrolled: 1-line block ×3, first 2 shown]
	ds_write2_b64 v0, v[18:19], v[16:17] offset1:1
	ds_write2_b64 v0, v[14:15], v[12:13] offset0:2 offset1:3
	ds_write2_b64 v0, v[10:11], v[6:7] offset0:4 offset1:5
	;; [unrolled: 1-line block ×4, first 2 shown]
.LBB0_15:
	s_or_b32 exec_lo, exec_lo, s1
	v_and_b32_e32 v0, 0xff, v40
	v_mov_b32_e32 v1, 15
	s_waitcnt lgkmcnt(0)
	s_barrier
	buffer_gl0_inv
	v_mul_lo_u16 v0, 0xcd, v0
	v_mad_i32_i24 v72, 0xffffffb8, v40, v50
	v_lshl_add_u32 v38, v44, 3, 0
	v_mov_b32_e32 v55, 0xa0
	v_cmp_gt_u32_e64 s0, 30, v40
	v_lshrrev_b16 v39, 11, v0
	v_add_nc_u32_e32 v73, 0x400, v72
	v_add_nc_u32_e32 v59, 0x800, v72
	v_mul_lo_u16 v0, v39, 10
	v_mul_u32_u24_sdwa v39, v39, v55 dst_sel:DWORD dst_unused:UNUSED_PAD src0_sel:WORD_0 src1_sel:DWORD
	v_sub_nc_u16 v71, v40, v0
	v_mul_u32_u24_sdwa v0, v71, v1 dst_sel:DWORD dst_unused:UNUSED_PAD src0_sel:BYTE_0 src1_sel:DWORD
	v_or_b32_sdwa v39, v39, v71 dst_sel:DWORD dst_unused:UNUSED_PAD src0_sel:DWORD src1_sel:BYTE_0
	v_lshlrev_b32_e32 v26, 3, v0
	v_lshl_add_u32 v39, v39, 3, 0
	s_clause 0x7
	global_load_dwordx4 v[0:3], v26, s[8:9]
	global_load_dwordx4 v[4:7], v26, s[8:9] offset:16
	global_load_dwordx4 v[8:11], v26, s[8:9] offset:32
	;; [unrolled: 1-line block ×6, first 2 shown]
	global_load_dwordx2 v[26:27], v26, s[8:9] offset:112
	ds_read_b64 v[67:68], v38
	ds_read2_b64 v[34:37], v73 offset0:52 offset1:142
	ds_read_b64 v[69:70], v46
	ds_read2_b64 v[51:54], v45 offset0:28 offset1:118
	ds_read2_b64 v[55:58], v49 offset0:80 offset1:170
	;; [unrolled: 1-line block ×4, first 2 shown]
	v_add_nc_u32_e32 v49, 0x2400, v46
	s_waitcnt vmcnt(7) lgkmcnt(6)
	v_mul_f32_e32 v71, v1, v68
	v_mul_f32_e32 v74, v1, v67
	s_waitcnt lgkmcnt(5)
	v_mul_f32_e32 v1, v3, v35
	v_mul_f32_e32 v75, v3, v34
	s_waitcnt vmcnt(6)
	v_mul_f32_e32 v76, v5, v37
	v_mul_f32_e32 v5, v5, v36
	v_fma_f32 v67, v0, v67, -v71
	v_fmac_f32_e32 v74, v0, v68
	v_fma_f32 v68, v2, v34, -v1
	v_fmac_f32_e32 v75, v2, v35
	ds_read2_b64 v[0:3], v47 offset0:56 offset1:146
	v_fma_f32 v71, v4, v36, -v76
	v_fmac_f32_e32 v5, v4, v37
	ds_read2_b64 v[34:37], v49 offset0:108 offset1:198
	s_waitcnt lgkmcnt(3)
	v_mul_f32_e32 v4, v7, v60
	v_mul_f32_e32 v7, v7, v59
	s_waitcnt vmcnt(5)
	v_mul_f32_e32 v76, v62, v9
	s_waitcnt vmcnt(0) lgkmcnt(0)
	s_barrier
	v_fma_f32 v4, v6, v59, -v4
	v_fmac_f32_e32 v7, v6, v60
	v_mul_f32_e32 v6, v61, v9
	v_mul_f32_e32 v9, v52, v11
	v_mul_f32_e32 v11, v51, v11
	v_mul_f32_e32 v59, v54, v13
	v_fma_f32 v60, v61, v8, -v76
	v_fmac_f32_e32 v6, v62, v8
	v_mul_f32_e32 v8, v53, v13
	v_mul_f32_e32 v13, v56, v15
	v_mul_f32_e32 v15, v55, v15
	v_mul_f32_e32 v61, v58, v17
	v_fma_f32 v9, v51, v10, -v9
	v_fmac_f32_e32 v11, v52, v10
	v_mul_f32_e32 v10, v57, v17
	v_mul_f32_e32 v17, v64, v19
	v_mul_f32_e32 v19, v63, v19
	v_mul_f32_e32 v51, v66, v21
	v_fma_f32 v52, v53, v12, -v59
	v_fmac_f32_e32 v8, v54, v12
	v_mul_f32_e32 v12, v65, v21
	v_mul_f32_e32 v21, v1, v23
	v_mul_f32_e32 v23, v0, v23
	v_mul_f32_e32 v53, v3, v31
	v_fma_f32 v13, v55, v14, -v13
	v_fmac_f32_e32 v15, v56, v14
	v_mul_f32_e32 v14, v2, v31
	v_mul_f32_e32 v31, v35, v33
	v_mul_f32_e32 v33, v34, v33
	v_mul_f32_e32 v54, v37, v27
	v_fma_f32 v55, v57, v16, -v61
	v_fmac_f32_e32 v10, v58, v16
	v_mul_f32_e32 v16, v36, v27
	v_fma_f32 v17, v63, v18, -v17
	v_fmac_f32_e32 v19, v64, v18
	v_fma_f32 v18, v65, v20, -v51
	v_fmac_f32_e32 v12, v66, v20
	;; [unrolled: 2-line block ×6, first 2 shown]
	v_sub_f32_e32 v13, v69, v13
	v_sub_f32_e32 v15, v70, v15
	;; [unrolled: 1-line block ×16, first 2 shown]
	v_fma_f32 v23, v69, 2.0, -v13
	v_fma_f32 v26, v70, 2.0, -v15
	;; [unrolled: 1-line block ×16, first 2 shown]
	v_sub_f32_e32 v20, v13, v20
	v_add_f32_e32 v0, v15, v0
	v_sub_f32_e32 v21, v17, v21
	v_add_f32_e32 v2, v19, v2
	;; [unrolled: 2-line block ×4, first 2 shown]
	v_sub_f32_e32 v4, v23, v4
	v_sub_f32_e32 v7, v26, v7
	v_fma_f32 v13, v13, 2.0, -v20
	v_fma_f32 v15, v15, 2.0, -v0
	v_sub_f32_e32 v9, v27, v9
	v_sub_f32_e32 v11, v30, v11
	v_fma_f32 v17, v17, 2.0, -v21
	v_fma_f32 v19, v19, 2.0, -v2
	;; [unrolled: 4-line block ×4, first 2 shown]
	v_fmamk_f32 v37, v2, 0x3f3504f3, v0
	v_fmamk_f32 v36, v21, 0x3f3504f3, v20
	;; [unrolled: 1-line block ×4, first 2 shown]
	v_fma_f32 v23, v23, 2.0, -v4
	v_fma_f32 v53, v26, 2.0, -v7
	;; [unrolled: 1-line block ×8, first 2 shown]
	v_fmamk_f32 v34, v17, 0xbf3504f3, v13
	v_fmamk_f32 v54, v19, 0xbf3504f3, v15
	v_add_f32_e32 v56, v7, v9
	v_fmac_f32_e32 v37, 0x3f3504f3, v21
	v_fmamk_f32 v21, v18, 0xbf3504f3, v22
	v_fmamk_f32 v57, v12, 0xbf3504f3, v10
	v_sub_f32_e32 v55, v4, v11
	v_fmac_f32_e32 v36, 0xbf3504f3, v2
	v_sub_f32_e32 v11, v33, v8
	v_add_f32_e32 v35, v6, v35
	v_fmac_f32_e32 v51, 0xbf3504f3, v3
	v_fmac_f32_e32 v52, 0x3f3504f3, v16
	v_sub_f32_e32 v16, v23, v26
	v_sub_f32_e32 v58, v53, v27
	v_fmac_f32_e32 v34, 0xbf3504f3, v19
	v_fmac_f32_e32 v54, 0x3f3504f3, v17
	v_fma_f32 v60, v7, 2.0, -v56
	v_sub_f32_e32 v7, v30, v32
	v_sub_f32_e32 v8, v31, v5
	v_fmac_f32_e32 v21, 0xbf3504f3, v12
	v_fmac_f32_e32 v57, 0x3f3504f3, v18
	v_fma_f32 v59, v4, 2.0, -v55
	v_fma_f32 v61, v20, 2.0, -v36
	;; [unrolled: 1-line block ×7, first 2 shown]
	v_fmamk_f32 v0, v11, 0x3f3504f3, v55
	v_fmamk_f32 v1, v35, 0x3f3504f3, v56
	;; [unrolled: 1-line block ×4, first 2 shown]
	v_fma_f32 v20, v23, 2.0, -v16
	v_fma_f32 v23, v53, 2.0, -v58
	;; [unrolled: 1-line block ×8, first 2 shown]
	v_fmamk_f32 v2, v17, 0xbf3504f3, v59
	v_fmamk_f32 v3, v18, 0xbf3504f3, v60
	;; [unrolled: 1-line block ×4, first 2 shown]
	v_sub_f32_e32 v6, v16, v8
	v_fmamk_f32 v8, v21, 0x3ec3ef15, v34
	v_fmamk_f32 v9, v57, 0x3ec3ef15, v54
	v_fmac_f32_e32 v0, 0xbf3504f3, v35
	v_fmac_f32_e32 v1, 0x3f3504f3, v11
	;; [unrolled: 1-line block ×4, first 2 shown]
	v_sub_f32_e32 v10, v20, v12
	v_sub_f32_e32 v11, v23, v13
	v_fmamk_f32 v12, v22, 0xbf6c835e, v32
	v_fmamk_f32 v13, v30, 0xbf6c835e, v33
	v_fmac_f32_e32 v2, 0xbf3504f3, v18
	v_fmac_f32_e32 v3, 0x3f3504f3, v17
	;; [unrolled: 1-line block ×4, first 2 shown]
	v_add_f32_e32 v7, v58, v7
	v_fmac_f32_e32 v8, 0xbf6c835e, v57
	v_fmac_f32_e32 v9, 0x3f6c835e, v21
	v_fma_f32 v14, v16, 2.0, -v6
	v_fma_f32 v16, v55, 2.0, -v0
	;; [unrolled: 1-line block ×5, first 2 shown]
	v_fmac_f32_e32 v12, 0xbec3ef15, v30
	v_fmac_f32_e32 v13, 0x3ec3ef15, v22
	buffer_gl0_inv
	ds_write2_b64 v39, v[0:1], v[26:27] offset0:140 offset1:150
	v_fma_f32 v0, v20, 2.0, -v10
	v_fma_f32 v1, v23, 2.0, -v11
	;; [unrolled: 1-line block ×9, first 2 shown]
	ds_write2_b64 v39, v[16:17], v[18:19] offset0:60 offset1:70
	ds_write2_b64 v39, v[2:3], v[4:5] offset0:100 offset1:110
	v_fma_f32 v2, v32, 2.0, -v12
	v_fma_f32 v3, v33, 2.0, -v13
	ds_write2_b64 v39, v[6:7], v[8:9] offset0:120 offset1:130
	ds_write2_b64 v39, v[20:21], v[22:23] offset0:20 offset1:30
	;; [unrolled: 1-line block ×4, first 2 shown]
	ds_write2_b64 v39, v[0:1], v[2:3] offset1:10
	s_waitcnt lgkmcnt(0)
	s_barrier
	buffer_gl0_inv
	ds_read2_b64 v[20:23], v41 offset0:96 offset1:186
	ds_read2_b64 v[4:7], v48 offset0:72 offset1:192
	ds_read_b64 v[34:35], v38
	ds_read2_b64 v[16:19], v47 offset0:26 offset1:116
	ds_read2_b64 v[0:3], v73 offset0:52 offset1:142
	;; [unrolled: 1-line block ×4, first 2 shown]
	ds_read_b64 v[36:37], v46
	ds_read_b64 v[32:33], v72 offset:2880
	v_mul_i32_i24_e32 v30, 0xffffffb8, v40
	v_add_nc_u32_e32 v39, v50, v30
	s_and_saveexec_b32 s1, s0
	s_cbranch_execz .LBB0_17
; %bb.16:
	ds_read_b64 v[26:27], v39 offset:3600
	ds_read_b64 v[24:25], v46 offset:7440
	;; [unrolled: 1-line block ×3, first 2 shown]
.LBB0_17:
	s_or_b32 exec_lo, exec_lo, s1
	v_add_nc_u32_e32 v30, 0xffffffba, v40
	v_cmp_gt_u32_e64 s1, 0x46, v40
	v_lshlrev_b32_e32 v47, 1, v40
	v_mov_b32_e32 v48, 0
	v_add_nc_u32_e32 v45, 0x168, v40
	v_add_nc_u32_e32 v41, 0x1c2, v40
	v_cndmask_b32_e64 v65, v30, v44, s1
	v_mov_b32_e32 v63, 4
	v_lshlrev_b64 v[30:31], 3, v[47:48]
	v_add_nc_u32_e32 v47, 40, v47
	v_mov_b32_e32 v50, v48
	v_lshlrev_b32_e32 v49, 1, v65
	v_lshlrev_b64 v[47:48], 3, v[47:48]
	v_add_co_u32 v30, s1, s8, v30
	v_lshlrev_b64 v[53:54], 3, v[49:50]
	v_add_co_ci_u32_e64 v31, s1, s9, v31, s1
	v_add_co_u32 v47, s1, s8, v47
	v_add_co_ci_u32_e64 v48, s1, s9, v48, s1
	v_add_co_u32 v57, s1, s8, v53
	global_load_dwordx4 v[49:52], v[30:31], off offset:1200
	v_add_co_ci_u32_e64 v58, s1, s9, v54, s1
	s_clause 0x1
	global_load_dwordx4 v[53:56], v[47:48], off offset:1200
	global_load_dwordx4 v[57:60], v[57:58], off offset:1200
	v_add_nc_u32_e32 v47, 0x10e, v40
	v_mov_b32_e32 v48, 0xcccd
	v_cmp_lt_u32_e64 s1, 0x45, v40
	v_mul_u32_u24_sdwa v61, v47, v48 dst_sel:DWORD dst_unused:UNUSED_PAD src0_sel:WORD_0 src1_sel:DWORD
	v_mul_u32_u24_sdwa v62, v45, v48 dst_sel:DWORD dst_unused:UNUSED_PAD src0_sel:WORD_0 src1_sel:DWORD
	;; [unrolled: 1-line block ×3, first 2 shown]
	v_lshrrev_b32_e32 v66, 23, v61
	v_lshrrev_b32_e32 v61, 23, v62
	;; [unrolled: 1-line block ×3, first 2 shown]
	v_mul_lo_u16 v62, 0xa0, v66
	v_mul_lo_u16 v61, 0xa0, v61
	;; [unrolled: 1-line block ×3, first 2 shown]
	v_sub_nc_u16 v67, v47, v62
	v_sub_nc_u16 v61, v45, v61
	v_sub_nc_u16 v48, v41, v48
	v_lshlrev_b32_sdwa v62, v63, v67 dst_sel:DWORD dst_unused:UNUSED_PAD src0_sel:DWORD src1_sel:WORD_0
	v_and_b32_e32 v68, 0xffff, v61
	v_and_b32_e32 v48, 0xffff, v48
	global_load_dwordx4 v[61:64], v62, s[8:9] offset:1200
	v_lshlrev_b32_e32 v69, 4, v68
	s_waitcnt vmcnt(3) lgkmcnt(8)
	v_mul_f32_e32 v70, v50, v21
	v_mul_f32_e32 v71, v50, v20
	s_waitcnt lgkmcnt(7)
	v_mul_f32_e32 v72, v52, v6
	v_mul_f32_e32 v50, v52, v7
	v_lshlrev_b32_e32 v52, 4, v48
	v_fma_f32 v70, v49, v20, -v70
	v_fmac_f32_e32 v71, v49, v21
	v_fmac_f32_e32 v72, v51, v7
	s_waitcnt vmcnt(2) lgkmcnt(3)
	v_mul_f32_e32 v7, v54, v13
	v_mul_f32_e32 v54, v54, v12
	;; [unrolled: 1-line block ×4, first 2 shown]
	s_waitcnt vmcnt(1)
	v_mul_f32_e32 v49, v58, v23
	v_fma_f32 v6, v51, v6, -v50
	v_mul_f32_e32 v58, v58, v22
	v_fmac_f32_e32 v54, v53, v13
	v_fma_f32 v13, v55, v18, -v20
	v_fmac_f32_e32 v56, v55, v19
	global_load_dwordx4 v[18:21], v69, s[8:9] offset:1200
	v_fma_f32 v22, v57, v22, -v49
	global_load_dwordx4 v[49:52], v52, s[8:9] offset:1200
	v_fma_f32 v12, v53, v12, -v7
	v_mov_b32_e32 v7, 3
	v_fmac_f32_e32 v58, v57, v23
	v_cndmask_b32_e64 v23, 0, 0xf00, s1
	v_lshlrev_b32_e32 v53, 3, v65
	v_mul_u32_u24_e32 v55, 0xf00, v66
	v_lshlrev_b32_sdwa v7, v7, v67 dst_sel:DWORD dst_unused:UNUSED_PAD src0_sel:DWORD src1_sel:WORD_0
	s_waitcnt lgkmcnt(1)
	v_add_f32_e32 v66, v37, v71
	v_add_f32_e32 v67, v71, v72
	v_add3_u32 v23, 0, v23, v53
	s_waitcnt vmcnt(0) lgkmcnt(0)
	v_add3_u32 v53, 0, v55, v7
	v_mul_f32_e32 v7, v60, v17
	v_mul_f32_e32 v60, v60, v16
	v_lshl_add_u32 v55, v68, 3, 0
	v_sub_f32_e32 v68, v70, v6
	v_mul_f32_e32 v69, v62, v15
	v_fma_f32 v16, v59, v16, -v7
	v_fmac_f32_e32 v60, v59, v17
	v_add_f32_e32 v17, v70, v6
	v_add_f32_e32 v7, v36, v70
	v_sub_f32_e32 v59, v71, v72
	v_mul_f32_e32 v62, v62, v14
	v_mul_f32_e32 v70, v9, v64
	;; [unrolled: 1-line block ×3, first 2 shown]
	v_fma_f32 v36, -0.5, v17, v36
	v_add_f32_e32 v6, v7, v6
	v_add_f32_e32 v7, v66, v72
	v_fmac_f32_e32 v37, -0.5, v67
	v_add_f32_e32 v17, v0, v12
	v_add_f32_e32 v66, v12, v13
	v_sub_f32_e32 v72, v12, v13
	v_fma_f32 v12, v61, v14, -v69
	v_fmac_f32_e32 v62, v61, v15
	v_fma_f32 v14, v8, v63, -v70
	v_fmac_f32_e32 v64, v9, v63
	v_fmamk_f32 v8, v59, 0x3f5db3d7, v36
	v_fmac_f32_e32 v36, 0xbf5db3d7, v59
	v_add_f32_e32 v71, v1, v54
	v_fmamk_f32 v9, v68, 0xbf5db3d7, v37
	v_fmac_f32_e32 v37, 0x3f5db3d7, v68
	v_add_f32_e32 v68, v22, v16
	v_sub_f32_e32 v69, v58, v60
	v_add_f32_e32 v70, v35, v58
	v_add_f32_e32 v58, v58, v60
	v_sub_f32_e32 v67, v54, v56
	v_add_f32_e32 v54, v54, v56
	s_barrier
	buffer_gl0_inv
	v_fmac_f32_e32 v35, -0.5, v58
	ds_write2_b64 v46, v[6:7], v[8:9] offset1:160
	ds_write_b64 v46, v[36:37] offset:2560
	v_fma_f32 v0, -0.5, v66, v0
	v_fma_f32 v1, -0.5, v54, v1
	v_sub_f32_e32 v54, v12, v14
	v_add_nc_u32_e32 v57, 0xe00, v46
	v_add_nc_u32_e32 v65, 0x1c00, v55
	v_mul_f32_e32 v15, v5, v19
	v_mul_f32_e32 v19, v4, v19
	;; [unrolled: 1-line block ×8, first 2 shown]
	v_fma_f32 v15, v4, v18, -v15
	v_fmac_f32_e32 v19, v5, v18
	v_add_f32_e32 v18, v34, v22
	v_add_f32_e32 v4, v17, v13
	v_fma_f32 v17, v10, v20, -v61
	v_fmac_f32_e32 v21, v11, v20
	v_fma_f32 v20, v24, v49, -v63
	v_fmac_f32_e32 v50, v25, v49
	;; [unrolled: 2-line block ×3, first 2 shown]
	v_add_f32_e32 v49, v3, v62
	v_add_f32_e32 v51, v62, v64
	;; [unrolled: 1-line block ×4, first 2 shown]
	v_sub_f32_e32 v22, v22, v16
	v_add_f32_e32 v5, v71, v56
	v_add_f32_e32 v10, v18, v16
	v_fma_f32 v34, -0.5, v68, v34
	v_add_f32_e32 v7, v49, v64
	v_fmac_f32_e32 v3, -0.5, v51
	v_add_f32_e32 v18, v15, v17
	v_add_f32_e32 v49, v20, v24
	v_sub_f32_e32 v51, v50, v52
	v_add_f32_e32 v56, v27, v50
	v_add_f32_e32 v50, v50, v52
	;; [unrolled: 1-line block ×3, first 2 shown]
	v_fma_f32 v2, -0.5, v28, v2
	v_sub_f32_e32 v28, v19, v21
	v_add_f32_e32 v25, v33, v19
	v_add_f32_e32 v19, v19, v21
	v_sub_f32_e32 v29, v62, v64
	v_add_f32_e32 v11, v70, v60
	v_add_f32_e32 v16, v32, v15
	v_add_f32_e32 v37, v26, v20
	v_sub_f32_e32 v20, v20, v24
	v_fmamk_f32 v8, v69, 0x3f5db3d7, v34
	v_fmamk_f32 v9, v22, 0xbf5db3d7, v35
	v_fma_f32 v32, -0.5, v18, v32
	v_fmac_f32_e32 v26, -0.5, v49
	v_fmac_f32_e32 v27, -0.5, v50
	v_fmac_f32_e32 v34, 0xbf5db3d7, v69
	v_fmac_f32_e32 v35, 0x3f5db3d7, v22
	v_fmamk_f32 v12, v67, 0x3f5db3d7, v0
	v_fmamk_f32 v13, v72, 0xbf5db3d7, v1
	v_sub_f32_e32 v36, v15, v17
	v_fmac_f32_e32 v33, -0.5, v19
	v_fmac_f32_e32 v0, 0xbf5db3d7, v67
	v_fmac_f32_e32 v1, 0x3f5db3d7, v72
	v_fmamk_f32 v14, v29, 0x3f5db3d7, v2
	v_fmac_f32_e32 v2, 0xbf5db3d7, v29
	v_fmamk_f32 v15, v54, 0xbf5db3d7, v3
	v_add_f32_e32 v16, v16, v17
	v_add_f32_e32 v17, v25, v21
	;; [unrolled: 1-line block ×4, first 2 shown]
	ds_write2_b64 v23, v[10:11], v[8:9] offset1:160
	ds_write_b64 v23, v[34:35] offset:2560
	ds_write2_b64 v57, v[4:5], v[12:13] offset0:52 offset1:212
	ds_write_b64 v46, v[0:1] offset:6560
	v_fmamk_f32 v0, v28, 0x3f5db3d7, v32
	v_fmac_f32_e32 v32, 0xbf5db3d7, v28
	v_fmamk_f32 v28, v51, 0x3f5db3d7, v26
	v_fmac_f32_e32 v26, 0xbf5db3d7, v51
	;; [unrolled: 2-line block ×3, first 2 shown]
	v_fmac_f32_e32 v3, 0x3f5db3d7, v54
	v_fmamk_f32 v1, v36, 0xbf5db3d7, v33
	v_fmac_f32_e32 v33, 0x3f5db3d7, v36
	ds_write2_b64 v53, v[6:7], v[14:15] offset1:160
	ds_write_b64 v53, v[2:3] offset:2560
	ds_write2_b64 v65, v[16:17], v[0:1] offset0:64 offset1:224
	ds_write_b64 v55, v[32:33] offset:10240
	s_and_saveexec_b32 s1, s0
	s_cbranch_execz .LBB0_19
; %bb.18:
	v_lshl_add_u32 v0, v48, 3, 0
	v_add_nc_u32_e32 v1, 0x1c00, v0
	ds_write2_b64 v1, v[24:25], v[28:29] offset0:64 offset1:224
	ds_write_b64 v0, v[26:27] offset:10240
.LBB0_19:
	s_or_b32 exec_lo, exec_lo, s1
	v_add_nc_u32_e32 v0, 0xc00, v46
	v_add_nc_u32_e32 v1, 0x1800, v46
	s_waitcnt lgkmcnt(0)
	s_barrier
	buffer_gl0_inv
	ds_read2_b64 v[16:19], v0 offset0:96 offset1:186
	ds_read2_b64 v[4:7], v1 offset0:72 offset1:192
	v_add_nc_u32_e32 v0, 0x2000, v46
	v_add_nc_u32_e32 v48, 0x400, v39
	;; [unrolled: 1-line block ×4, first 2 shown]
	ds_read_b64 v[34:35], v38
	ds_read2_b64 v[20:23], v0 offset0:26 offset1:116
	ds_read2_b64 v[0:3], v48 offset0:52 offset1:142
	;; [unrolled: 1-line block ×4, first 2 shown]
	ds_read_b64 v[36:37], v46
	ds_read_b64 v[32:33], v39 offset:2880
	s_and_saveexec_b32 s1, s0
	s_cbranch_execz .LBB0_21
; %bb.20:
	ds_read_b64 v[24:25], v39 offset:3600
	ds_read_b64 v[28:29], v46 offset:7440
	;; [unrolled: 1-line block ×3, first 2 shown]
.LBB0_21:
	s_or_b32 exec_lo, exec_lo, s1
	v_add_co_u32 v49, s1, 0x800, v30
	v_add_co_ci_u32_e64 v50, s1, 0, v31, s1
	v_lshlrev_b32_e32 v30, 1, v44
	v_mov_b32_e32 v31, 0
	global_load_dwordx4 v[49:52], v[49:50], off offset:1712
	v_lshlrev_b64 v[53:54], 3, v[30:31]
	v_lshl_add_u32 v30, v40, 1, 0x168
	v_lshlrev_b64 v[57:58], 3, v[30:31]
	v_add_co_u32 v53, s1, s8, v53
	v_add_co_ci_u32_e64 v54, s1, s9, v54, s1
	v_lshlrev_b32_e32 v30, 1, v47
	v_add_co_u32 v53, s1, 0x800, v53
	v_add_co_ci_u32_e64 v54, s1, 0, v54, s1
	v_add_co_u32 v47, s1, s8, v57
	v_add_co_ci_u32_e64 v60, s1, s9, v58, s1
	global_load_dwordx4 v[53:56], v[53:54], off offset:1712
	v_lshlrev_b64 v[57:58], 3, v[30:31]
	v_add_co_u32 v59, s1, 0x800, v47
	v_lshlrev_b32_e32 v30, 1, v45
	v_add_co_ci_u32_e64 v60, s1, 0, v60, s1
	v_add_co_u32 v47, s1, s8, v57
	v_add_co_ci_u32_e64 v62, s1, s9, v58, s1
	v_lshlrev_b64 v[65:66], 3, v[30:31]
	v_add_co_u32 v61, s1, 0x800, v47
	v_add_co_ci_u32_e64 v62, s1, 0, v62, s1
	global_load_dwordx4 v[57:60], v[59:60], off offset:1712
	v_add_co_u32 v30, s1, s8, v65
	global_load_dwordx4 v[61:64], v[61:62], off offset:1712
	v_add_co_ci_u32_e64 v45, s1, s9, v66, s1
	v_add_co_u32 v65, s1, 0x800, v30
	v_add_nc_u32_e32 v30, 0x1000, v39
	v_add_co_ci_u32_e64 v66, s1, 0, v45, s1
	v_add_nc_u32_e32 v45, 0x2000, v39
	global_load_dwordx4 v[65:68], v[65:66], off offset:1712
	s_waitcnt vmcnt(0) lgkmcnt(0)
	s_barrier
	buffer_gl0_inv
	v_mul_f32_e32 v47, v50, v17
	v_mul_f32_e32 v50, v50, v16
	v_mul_f32_e32 v69, v52, v7
	v_mul_f32_e32 v52, v52, v6
	v_fma_f32 v16, v49, v16, -v47
	v_fmac_f32_e32 v50, v49, v17
	v_fma_f32 v6, v51, v6, -v69
	v_fmac_f32_e32 v52, v51, v7
	v_add_f32_e32 v7, v36, v16
	v_add_f32_e32 v49, v37, v50
	;; [unrolled: 1-line block ×3, first 2 shown]
	v_sub_f32_e32 v47, v50, v52
	v_add_f32_e32 v50, v50, v52
	v_sub_f32_e32 v51, v16, v6
	v_add_f32_e32 v6, v7, v6
	v_fma_f32 v36, -0.5, v17, v36
	v_add_f32_e32 v7, v49, v52
	v_fmac_f32_e32 v37, -0.5, v50
	v_fmamk_f32 v16, v47, 0x3f5db3d7, v36
	v_mul_f32_e32 v49, v54, v19
	v_mul_f32_e32 v50, v54, v18
	v_mul_f32_e32 v52, v56, v21
	v_mul_f32_e32 v54, v56, v20
	v_fmamk_f32 v17, v51, 0xbf5db3d7, v37
	ds_write_b64 v46, v[6:7]
	v_fma_f32 v6, v53, v18, -v49
	v_fmac_f32_e32 v50, v53, v19
	v_fma_f32 v7, v55, v20, -v52
	v_fmac_f32_e32 v54, v55, v21
	v_fmac_f32_e32 v36, 0xbf5db3d7, v47
	;; [unrolled: 1-line block ×3, first 2 shown]
	ds_write_b64 v46, v[16:17] offset:3840
	ds_write_b64 v46, v[36:37] offset:7680
	v_mul_f32_e32 v18, v58, v13
	v_mul_f32_e32 v19, v58, v12
	;; [unrolled: 1-line block ×5, first 2 shown]
	v_fma_f32 v12, v57, v12, -v18
	v_fmac_f32_e32 v19, v57, v13
	v_fma_f32 v13, v59, v22, -v20
	v_fmac_f32_e32 v21, v59, v23
	v_mul_f32_e32 v17, v62, v14
	v_mul_f32_e32 v18, v9, v64
	;; [unrolled: 1-line block ×3, first 2 shown]
	v_add_f32_e32 v22, v34, v6
	v_add_f32_e32 v37, v35, v50
	v_add_f32_e32 v47, v50, v54
	v_add_f32_e32 v23, v6, v7
	v_sub_f32_e32 v49, v6, v7
	v_fma_f32 v14, v61, v14, -v16
	v_fmac_f32_e32 v17, v61, v15
	v_fma_f32 v15, v8, v63, -v18
	v_fmac_f32_e32 v20, v9, v63
	v_mul_f32_e32 v8, v5, v66
	v_mul_f32_e32 v16, v4, v66
	;; [unrolled: 1-line block ×4, first 2 shown]
	v_add_f32_e32 v6, v22, v7
	v_add_f32_e32 v7, v37, v54
	v_fmac_f32_e32 v35, -0.5, v47
	v_add_f32_e32 v22, v0, v12
	v_sub_f32_e32 v37, v19, v21
	v_add_f32_e32 v47, v1, v19
	v_add_f32_e32 v19, v19, v21
	v_sub_f32_e32 v36, v50, v54
	v_fma_f32 v34, -0.5, v23, v34
	v_add_f32_e32 v23, v12, v13
	v_sub_f32_e32 v12, v12, v13
	v_fma_f32 v50, v4, v65, -v8
	v_fmac_f32_e32 v16, v5, v65
	v_fma_f32 v51, v10, v67, -v9
	v_fmac_f32_e32 v18, v11, v67
	v_add_f32_e32 v8, v22, v13
	v_fma_f32 v1, -0.5, v19, v1
	v_add_f32_e32 v10, v2, v14
	v_add_f32_e32 v11, v14, v15
	v_sub_f32_e32 v13, v17, v20
	v_add_f32_e32 v19, v3, v17
	v_add_f32_e32 v17, v17, v20
	v_sub_f32_e32 v14, v14, v15
	v_add_f32_e32 v10, v10, v15
	v_fma_f32 v2, -0.5, v11, v2
	v_add_f32_e32 v11, v19, v20
	v_fmac_f32_e32 v3, -0.5, v17
	v_add_f32_e32 v15, v50, v51
	v_sub_f32_e32 v17, v16, v18
	v_add_f32_e32 v19, v33, v16
	v_add_f32_e32 v16, v16, v18
	v_fmamk_f32 v4, v36, 0x3f5db3d7, v34
	v_fmamk_f32 v5, v49, 0xbf5db3d7, v35
	v_fma_f32 v0, -0.5, v23, v0
	v_fmac_f32_e32 v34, 0xbf5db3d7, v36
	v_fmac_f32_e32 v35, 0x3f5db3d7, v49
	ds_write_b64 v38, v[6:7]
	v_fmamk_f32 v7, v12, 0xbf5db3d7, v1
	v_fmac_f32_e32 v1, 0x3f5db3d7, v12
	v_add_f32_e32 v12, v32, v50
	v_add_f32_e32 v9, v47, v21
	v_sub_f32_e32 v20, v50, v51
	v_fma_f32 v32, -0.5, v15, v32
	v_fmac_f32_e32 v33, -0.5, v16
	v_fmamk_f32 v6, v37, 0x3f5db3d7, v0
	ds_write_b64 v38, v[4:5] offset:3840
	ds_write_b64 v38, v[34:35] offset:7680
	v_fmamk_f32 v4, v13, 0x3f5db3d7, v2
	v_fmamk_f32 v5, v14, 0xbf5db3d7, v3
	v_fmac_f32_e32 v0, 0xbf5db3d7, v37
	v_fmac_f32_e32 v2, 0xbf5db3d7, v13
	;; [unrolled: 1-line block ×3, first 2 shown]
	v_add_f32_e32 v12, v12, v51
	v_add_f32_e32 v13, v19, v18
	ds_write2_b64 v48, v[8:9], v[10:11] offset0:52 offset1:142
	v_fmamk_f32 v8, v17, 0x3f5db3d7, v32
	v_fmamk_f32 v9, v20, 0xbf5db3d7, v33
	v_fmac_f32_e32 v32, 0xbf5db3d7, v17
	v_fmac_f32_e32 v33, 0x3f5db3d7, v20
	ds_write2_b64 v30, v[6:7], v[4:5] offset0:148 offset1:238
	ds_write2_b64 v45, v[0:1], v[2:3] offset0:116 offset1:206
	ds_write_b64 v39, v[12:13] offset:2880
	ds_write_b64 v39, v[8:9] offset:6720
	;; [unrolled: 1-line block ×3, first 2 shown]
	s_and_saveexec_b32 s1, s0
	s_cbranch_execz .LBB0_23
; %bb.22:
	v_subrev_nc_u32_e32 v0, 30, v40
	v_cndmask_b32_e64 v0, v0, v41, s0
	v_lshlrev_b32_e32 v30, 1, v0
	v_lshlrev_b64 v[0:1], 3, v[30:31]
	v_add_co_u32 v0, s0, s8, v0
	v_add_co_ci_u32_e64 v1, s0, s9, v1, s0
	v_add_co_u32 v0, s0, 0x800, v0
	v_add_co_ci_u32_e64 v1, s0, 0, v1, s0
	global_load_dwordx4 v[0:3], v[0:1], off offset:1712
	s_waitcnt vmcnt(0)
	v_mul_f32_e32 v4, v29, v1
	v_mul_f32_e32 v5, v28, v1
	;; [unrolled: 1-line block ×4, first 2 shown]
	v_fma_f32 v3, v28, v0, -v4
	v_fmac_f32_e32 v5, v29, v0
	v_fmac_f32_e32 v6, v27, v2
	v_fma_f32 v2, v26, v2, -v1
	v_add_f32_e32 v9, v24, v3
	v_add_f32_e32 v8, v25, v5
	;; [unrolled: 1-line block ×4, first 2 shown]
	v_sub_f32_e32 v4, v3, v2
	v_sub_f32_e32 v10, v5, v6
	v_add_f32_e32 v3, v8, v6
	v_fma_f32 v1, -0.5, v0, v25
	v_fma_f32 v0, -0.5, v7, v24
	v_add_f32_e32 v2, v9, v2
	v_fmamk_f32 v5, v4, 0x3f5db3d7, v1
	v_fmac_f32_e32 v1, 0xbf5db3d7, v4
	v_fmamk_f32 v4, v10, 0xbf5db3d7, v0
	v_fmac_f32_e32 v0, 0x3f5db3d7, v10
	ds_write_b64 v46, v[2:3] offset:3600
	ds_write_b64 v46, v[0:1] offset:7440
	;; [unrolled: 1-line block ×3, first 2 shown]
.LBB0_23:
	s_or_b32 exec_lo, exec_lo, s1
	s_waitcnt lgkmcnt(0)
	s_barrier
	buffer_gl0_inv
	ds_read_b64 v[4:5], v46
	v_lshlrev_b32_e32 v0, 3, v40
	s_add_u32 s1, s8, 0x2cb0
	s_addc_u32 s4, s9, 0
	s_mov_b32 s5, exec_lo
                                        ; implicit-def: $vgpr2
                                        ; implicit-def: $vgpr7
                                        ; implicit-def: $vgpr8
	v_sub_nc_u32_e32 v6, 0, v0
                                        ; implicit-def: $vgpr0_vgpr1
	v_cmpx_ne_u32_e32 0, v40
	s_xor_b32 s5, exec_lo, s5
	s_cbranch_execz .LBB0_25
; %bb.24:
	v_mov_b32_e32 v41, 0
	ds_read_b64 v[2:3], v6 offset:11520
	v_lshlrev_b64 v[0:1], 3, v[40:41]
	v_add_co_u32 v0, s0, s1, v0
	v_add_co_ci_u32_e64 v1, s0, s4, v1, s0
	global_load_dwordx2 v[0:1], v[0:1], off
	s_waitcnt lgkmcnt(0)
	v_sub_f32_e32 v7, v4, v2
	v_add_f32_e32 v8, v3, v5
	v_sub_f32_e32 v3, v5, v3
	v_add_f32_e32 v2, v2, v4
	v_mul_f32_e32 v5, 0.5, v7
	v_mul_f32_e32 v9, 0.5, v8
	;; [unrolled: 1-line block ×3, first 2 shown]
	s_waitcnt vmcnt(0)
	v_mul_f32_e32 v4, v1, v5
	v_fma_f32 v8, v9, v1, v3
	v_fma_f32 v1, v9, v1, -v3
	v_fma_f32 v7, 0.5, v2, v4
	v_fma_f32 v2, v2, 0.5, -v4
	v_fma_f32 v8, -v0, v5, v8
	v_fma_f32 v3, -v0, v5, v1
                                        ; implicit-def: $vgpr4_vgpr5
	v_fmac_f32_e32 v7, v0, v9
	v_fma_f32 v2, -v0, v9, v2
	v_mov_b32_e32 v0, v40
	v_mov_b32_e32 v1, v41
.LBB0_25:
	s_andn2_saveexec_b32 s0, s5
	s_cbranch_execz .LBB0_27
; %bb.26:
	v_mov_b32_e32 v8, 0
	s_waitcnt lgkmcnt(0)
	v_add_f32_e32 v7, v4, v5
	v_sub_f32_e32 v2, v4, v5
	v_mov_b32_e32 v3, 0
	ds_read_b32 v0, v8 offset:5764
	s_waitcnt lgkmcnt(0)
	v_xor_b32_e32 v4, 0x80000000, v0
	v_mov_b32_e32 v0, 0
	v_mov_b32_e32 v1, 0
	ds_write_b32 v8, v4 offset:5764
.LBB0_27:
	s_or_b32 exec_lo, exec_lo, s0
	v_mov_b32_e32 v45, 0
	v_lshlrev_b64 v[0:1], 3, v[0:1]
	s_waitcnt lgkmcnt(0)
	v_lshlrev_b64 v[4:5], 3, v[44:45]
	v_add_co_u32 v4, s0, s1, v4
	v_add_co_ci_u32_e64 v5, s0, s4, v5, s0
	v_add_co_u32 v9, s0, s1, v0
	v_add_co_ci_u32_e64 v10, s0, s4, v1, s0
	global_load_dwordx2 v[4:5], v[4:5], off
	v_add_co_u32 v13, s0, 0x800, v9
	global_load_dwordx2 v[11:12], v[9:10], off offset:1440
	v_add_co_ci_u32_e64 v14, s0, 0, v10, s0
	v_add_co_u32 v9, s0, 0x1000, v9
	s_clause 0x2
	global_load_dwordx2 v[15:16], v[13:14], off offset:112
	global_load_dwordx2 v[17:18], v[13:14], off offset:832
	;; [unrolled: 1-line block ×3, first 2 shown]
	v_add_co_ci_u32_e64 v10, s0, 0, v10, s0
	global_load_dwordx2 v[19:20], v[9:10], off offset:224
	ds_write2_b32 v46, v7, v8 offset1:1
	ds_write_b64 v6, v[2:3] offset:11520
	global_load_dwordx2 v[2:3], v[9:10], off offset:944
	ds_read_b64 v[7:8], v38
	ds_read_b64 v[9:10], v6 offset:10800
	s_waitcnt lgkmcnt(0)
	v_sub_f32_e32 v21, v7, v9
	v_add_f32_e32 v22, v8, v10
	v_sub_f32_e32 v8, v8, v10
	v_add_f32_e32 v7, v7, v9
	v_mul_f32_e32 v10, 0.5, v21
	v_mul_f32_e32 v21, 0.5, v22
	;; [unrolled: 1-line block ×3, first 2 shown]
	s_waitcnt vmcnt(6)
	v_mul_f32_e32 v9, v5, v10
	v_fma_f32 v22, v21, v5, v8
	v_fma_f32 v5, v21, v5, -v8
	v_fma_f32 v8, 0.5, v7, v9
	v_fma_f32 v7, v7, 0.5, -v9
	v_fma_f32 v9, -v4, v10, v22
	v_fma_f32 v5, -v4, v10, v5
	v_fmac_f32_e32 v8, v4, v21
	v_fma_f32 v4, -v4, v21, v7
	ds_write2_b32 v38, v8, v9 offset1:1
	ds_write_b64 v6, v[4:5] offset:10800
	ds_read_b64 v[4:5], v39 offset:1440
	ds_read_b64 v[7:8], v6 offset:10080
	s_waitcnt lgkmcnt(0)
	v_sub_f32_e32 v9, v4, v7
	v_add_f32_e32 v10, v5, v8
	v_sub_f32_e32 v5, v5, v8
	v_add_f32_e32 v4, v4, v7
	v_mul_f32_e32 v8, 0.5, v9
	v_mul_f32_e32 v9, 0.5, v10
	v_mul_f32_e32 v5, 0.5, v5
	s_waitcnt vmcnt(5)
	v_mul_f32_e32 v7, v12, v8
	v_fma_f32 v10, v9, v12, v5
	v_fma_f32 v5, v9, v12, -v5
	v_fma_f32 v12, 0.5, v4, v7
	v_fma_f32 v4, v4, 0.5, -v7
	v_fma_f32 v7, -v11, v8, v10
	v_fma_f32 v5, -v11, v8, v5
	v_fmac_f32_e32 v12, v11, v9
	v_fma_f32 v4, -v11, v9, v4
	ds_write_b32 v39, v7 offset:1444
	ds_write_b32 v6, v5 offset:10084
	ds_write_b32 v39, v12 offset:1440
	ds_write_b32 v6, v4 offset:10080
	ds_read_b64 v[4:5], v39 offset:2160
	ds_read_b64 v[7:8], v6 offset:9360
	s_waitcnt lgkmcnt(0)
	v_sub_f32_e32 v9, v4, v7
	v_add_f32_e32 v10, v5, v8
	v_sub_f32_e32 v5, v5, v8
	v_add_f32_e32 v4, v4, v7
	v_mul_f32_e32 v8, 0.5, v9
	v_mul_f32_e32 v9, 0.5, v10
	v_mul_f32_e32 v5, 0.5, v5
	s_waitcnt vmcnt(4)
	v_mul_f32_e32 v7, v16, v8
	v_fma_f32 v10, v9, v16, v5
	v_fma_f32 v5, v9, v16, -v5
	v_fma_f32 v11, 0.5, v4, v7
	v_fma_f32 v4, v4, 0.5, -v7
	v_fma_f32 v7, -v15, v8, v10
	v_fma_f32 v5, -v15, v8, v5
	v_fmac_f32_e32 v11, v15, v9
	v_fma_f32 v4, -v15, v9, v4
	ds_write_b32 v39, v7 offset:2164
	ds_write_b32 v6, v5 offset:9364
	ds_write_b32 v39, v11 offset:2160
	ds_write_b32 v6, v4 offset:9360
	;; [unrolled: 24-line block ×4, first 2 shown]
	ds_read_b64 v[4:5], v46 offset:4320
	ds_read_b64 v[7:8], v6 offset:7200
	s_waitcnt lgkmcnt(0)
	v_sub_f32_e32 v9, v4, v7
	v_add_f32_e32 v10, v5, v8
	v_sub_f32_e32 v5, v5, v8
	v_add_f32_e32 v4, v4, v7
	v_mul_f32_e32 v8, 0.5, v9
	v_mul_f32_e32 v9, 0.5, v10
	;; [unrolled: 1-line block ×3, first 2 shown]
	s_waitcnt vmcnt(1)
	v_mul_f32_e32 v7, v20, v8
	v_fma_f32 v10, v9, v20, v5
	v_fma_f32 v5, v9, v20, -v5
	v_fma_f32 v11, 0.5, v4, v7
	v_fma_f32 v7, v4, 0.5, -v7
	v_add_nc_u32_e32 v4, 0x1000, v46
	v_fma_f32 v10, -v19, v8, v10
	v_fma_f32 v8, -v19, v8, v5
	v_fmac_f32_e32 v11, v19, v9
	v_fma_f32 v7, -v19, v9, v7
	ds_write2_b32 v4, v11, v10 offset0:56 offset1:57
	ds_write_b64 v6, v[7:8] offset:7200
	ds_read_b64 v[7:8], v46 offset:5040
	ds_read_b64 v[9:10], v6 offset:6480
	s_waitcnt lgkmcnt(0)
	v_sub_f32_e32 v5, v7, v9
	v_add_f32_e32 v11, v8, v10
	v_sub_f32_e32 v8, v8, v10
	v_add_f32_e32 v7, v7, v9
	v_mul_f32_e32 v5, 0.5, v5
	v_mul_f32_e32 v10, 0.5, v11
	;; [unrolled: 1-line block ×3, first 2 shown]
	s_waitcnt vmcnt(0)
	v_mul_f32_e32 v9, v3, v5
	v_fma_f32 v11, v10, v3, v8
	v_fma_f32 v3, v10, v3, -v8
	v_fma_f32 v8, 0.5, v7, v9
	v_fma_f32 v7, v7, 0.5, -v9
	v_fma_f32 v9, -v2, v5, v11
	v_fma_f32 v3, -v2, v5, v3
	v_fmac_f32_e32 v8, v2, v10
	v_fma_f32 v2, -v2, v10, v7
	ds_write2_b32 v4, v8, v9 offset0:236 offset1:237
	ds_write_b64 v6, v[2:3] offset:6480
	s_waitcnt lgkmcnt(0)
	s_barrier
	buffer_gl0_inv
	s_and_saveexec_b32 s0, vcc_lo
	s_cbranch_execz .LBB0_30
; %bb.28:
	v_add_nc_u32_e32 v2, 0x400, v46
	v_add_nc_u32_e32 v3, 0x800, v46
	;; [unrolled: 1-line block ×3, first 2 shown]
	ds_read2_b64 v[5:8], v46 offset1:90
	ds_read2_b64 v[9:12], v2 offset0:52 offset1:142
	ds_read2_b64 v[13:16], v3 offset0:104 offset1:194
	v_add_co_u32 v2, vcc_lo, s2, v42
	v_add_co_ci_u32_e32 v3, vcc_lo, s3, v43, vcc_lo
	ds_read2_b64 v[17:20], v4 offset0:28 offset1:118
	v_add_nc_u32_e32 v4, 0x1400, v46
	v_add_co_u32 v0, vcc_lo, v2, v0
	v_add_co_ci_u32_e32 v1, vcc_lo, v3, v1, vcc_lo
	ds_read2_b64 v[21:24], v4 offset0:80 offset1:170
	v_add_co_u32 v29, vcc_lo, 0x800, v0
	v_add_co_ci_u32_e32 v30, vcc_lo, 0, v1, vcc_lo
	ds_read2_b64 v[25:28], v25 offset0:132 offset1:222
	v_add_nc_u32_e32 v4, 0x2000, v46
	s_waitcnt lgkmcnt(5)
	global_store_dwordx2 v[0:1], v[5:6], off
	global_store_dwordx2 v[0:1], v[7:8], off offset:720
	s_waitcnt lgkmcnt(4)
	global_store_dwordx2 v[0:1], v[9:10], off offset:1440
	global_store_dwordx2 v[29:30], v[11:12], off offset:112
	s_waitcnt lgkmcnt(3)
	global_store_dwordx2 v[29:30], v[13:14], off offset:832
	v_add_nc_u32_e32 v8, 0x2400, v46
	v_add_co_u32 v12, vcc_lo, 0x1000, v0
	ds_read2_b64 v[4:7], v4 offset0:56 offset1:146
	ds_read2_b64 v[8:11], v8 offset0:108 offset1:198
	v_add_co_ci_u32_e32 v13, vcc_lo, 0, v1, vcc_lo
	v_add_co_u32 v31, vcc_lo, 0x1800, v0
	v_add_co_ci_u32_e32 v32, vcc_lo, 0, v1, vcc_lo
	global_store_dwordx2 v[29:30], v[15:16], off offset:1552
	s_waitcnt lgkmcnt(4)
	global_store_dwordx2 v[12:13], v[17:18], off offset:224
	global_store_dwordx2 v[12:13], v[19:20], off offset:944
	s_waitcnt lgkmcnt(3)
	global_store_dwordx2 v[12:13], v[21:22], off offset:1664
	;; [unrolled: 3-line block ×3, first 2 shown]
	global_store_dwordx2 v[31:32], v[27:28], off offset:1776
	v_add_co_u32 v12, vcc_lo, 0x2000, v0
	v_add_co_ci_u32_e32 v13, vcc_lo, 0, v1, vcc_lo
	v_add_co_u32 v0, vcc_lo, 0x2800, v0
	v_add_co_ci_u32_e32 v1, vcc_lo, 0, v1, vcc_lo
	v_cmp_eq_u32_e32 vcc_lo, 0x59, v40
	s_waitcnt lgkmcnt(1)
	global_store_dwordx2 v[12:13], v[4:5], off offset:448
	global_store_dwordx2 v[12:13], v[6:7], off offset:1168
	s_waitcnt lgkmcnt(0)
	global_store_dwordx2 v[12:13], v[8:9], off offset:1888
	global_store_dwordx2 v[0:1], v[10:11], off offset:560
	s_and_b32 exec_lo, exec_lo, vcc_lo
	s_cbranch_execz .LBB0_30
; %bb.29:
	v_mov_b32_e32 v0, 0
	v_add_co_u32 v2, vcc_lo, 0x2800, v2
	v_add_co_ci_u32_e32 v3, vcc_lo, 0, v3, vcc_lo
	ds_read_b64 v[0:1], v0 offset:11520
	s_waitcnt lgkmcnt(0)
	global_store_dwordx2 v[2:3], v[0:1], off offset:1280
.LBB0_30:
	s_endpgm
	.section	.rodata,"a",@progbits
	.p2align	6, 0x0
	.amdhsa_kernel fft_rtc_fwd_len1440_factors_10_16_3_3_wgs_90_tpt_90_halfLds_sp_ip_CI_unitstride_sbrr_R2C_dirReg
		.amdhsa_group_segment_fixed_size 0
		.amdhsa_private_segment_fixed_size 0
		.amdhsa_kernarg_size 88
		.amdhsa_user_sgpr_count 6
		.amdhsa_user_sgpr_private_segment_buffer 1
		.amdhsa_user_sgpr_dispatch_ptr 0
		.amdhsa_user_sgpr_queue_ptr 0
		.amdhsa_user_sgpr_kernarg_segment_ptr 1
		.amdhsa_user_sgpr_dispatch_id 0
		.amdhsa_user_sgpr_flat_scratch_init 0
		.amdhsa_user_sgpr_private_segment_size 0
		.amdhsa_wavefront_size32 1
		.amdhsa_uses_dynamic_stack 0
		.amdhsa_system_sgpr_private_segment_wavefront_offset 0
		.amdhsa_system_sgpr_workgroup_id_x 1
		.amdhsa_system_sgpr_workgroup_id_y 0
		.amdhsa_system_sgpr_workgroup_id_z 0
		.amdhsa_system_sgpr_workgroup_info 0
		.amdhsa_system_vgpr_workitem_id 0
		.amdhsa_next_free_vgpr 77
		.amdhsa_next_free_sgpr 21
		.amdhsa_reserve_vcc 1
		.amdhsa_reserve_flat_scratch 0
		.amdhsa_float_round_mode_32 0
		.amdhsa_float_round_mode_16_64 0
		.amdhsa_float_denorm_mode_32 3
		.amdhsa_float_denorm_mode_16_64 3
		.amdhsa_dx10_clamp 1
		.amdhsa_ieee_mode 1
		.amdhsa_fp16_overflow 0
		.amdhsa_workgroup_processor_mode 1
		.amdhsa_memory_ordered 1
		.amdhsa_forward_progress 0
		.amdhsa_shared_vgpr_count 0
		.amdhsa_exception_fp_ieee_invalid_op 0
		.amdhsa_exception_fp_denorm_src 0
		.amdhsa_exception_fp_ieee_div_zero 0
		.amdhsa_exception_fp_ieee_overflow 0
		.amdhsa_exception_fp_ieee_underflow 0
		.amdhsa_exception_fp_ieee_inexact 0
		.amdhsa_exception_int_div_zero 0
	.end_amdhsa_kernel
	.text
.Lfunc_end0:
	.size	fft_rtc_fwd_len1440_factors_10_16_3_3_wgs_90_tpt_90_halfLds_sp_ip_CI_unitstride_sbrr_R2C_dirReg, .Lfunc_end0-fft_rtc_fwd_len1440_factors_10_16_3_3_wgs_90_tpt_90_halfLds_sp_ip_CI_unitstride_sbrr_R2C_dirReg
                                        ; -- End function
	.section	.AMDGPU.csdata,"",@progbits
; Kernel info:
; codeLenInByte = 10220
; NumSgprs: 23
; NumVgprs: 77
; ScratchSize: 0
; MemoryBound: 0
; FloatMode: 240
; IeeeMode: 1
; LDSByteSize: 0 bytes/workgroup (compile time only)
; SGPRBlocks: 2
; VGPRBlocks: 9
; NumSGPRsForWavesPerEU: 23
; NumVGPRsForWavesPerEU: 77
; Occupancy: 12
; WaveLimiterHint : 1
; COMPUTE_PGM_RSRC2:SCRATCH_EN: 0
; COMPUTE_PGM_RSRC2:USER_SGPR: 6
; COMPUTE_PGM_RSRC2:TRAP_HANDLER: 0
; COMPUTE_PGM_RSRC2:TGID_X_EN: 1
; COMPUTE_PGM_RSRC2:TGID_Y_EN: 0
; COMPUTE_PGM_RSRC2:TGID_Z_EN: 0
; COMPUTE_PGM_RSRC2:TIDIG_COMP_CNT: 0
	.text
	.p2alignl 6, 3214868480
	.fill 48, 4, 3214868480
	.type	__hip_cuid_ae0d9dc329e47751,@object ; @__hip_cuid_ae0d9dc329e47751
	.section	.bss,"aw",@nobits
	.globl	__hip_cuid_ae0d9dc329e47751
__hip_cuid_ae0d9dc329e47751:
	.byte	0                               ; 0x0
	.size	__hip_cuid_ae0d9dc329e47751, 1

	.ident	"AMD clang version 19.0.0git (https://github.com/RadeonOpenCompute/llvm-project roc-6.4.0 25133 c7fe45cf4b819c5991fe208aaa96edf142730f1d)"
	.section	".note.GNU-stack","",@progbits
	.addrsig
	.addrsig_sym __hip_cuid_ae0d9dc329e47751
	.amdgpu_metadata
---
amdhsa.kernels:
  - .args:
      - .actual_access:  read_only
        .address_space:  global
        .offset:         0
        .size:           8
        .value_kind:     global_buffer
      - .offset:         8
        .size:           8
        .value_kind:     by_value
      - .actual_access:  read_only
        .address_space:  global
        .offset:         16
        .size:           8
        .value_kind:     global_buffer
      - .actual_access:  read_only
        .address_space:  global
        .offset:         24
        .size:           8
        .value_kind:     global_buffer
      - .offset:         32
        .size:           8
        .value_kind:     by_value
      - .actual_access:  read_only
        .address_space:  global
        .offset:         40
        .size:           8
        .value_kind:     global_buffer
      - .actual_access:  read_only
        .address_space:  global
        .offset:         48
        .size:           8
        .value_kind:     global_buffer
      - .offset:         56
        .size:           4
        .value_kind:     by_value
      - .actual_access:  read_only
        .address_space:  global
        .offset:         64
        .size:           8
        .value_kind:     global_buffer
      - .actual_access:  read_only
        .address_space:  global
        .offset:         72
        .size:           8
        .value_kind:     global_buffer
      - .address_space:  global
        .offset:         80
        .size:           8
        .value_kind:     global_buffer
    .group_segment_fixed_size: 0
    .kernarg_segment_align: 8
    .kernarg_segment_size: 88
    .language:       OpenCL C
    .language_version:
      - 2
      - 0
    .max_flat_workgroup_size: 90
    .name:           fft_rtc_fwd_len1440_factors_10_16_3_3_wgs_90_tpt_90_halfLds_sp_ip_CI_unitstride_sbrr_R2C_dirReg
    .private_segment_fixed_size: 0
    .sgpr_count:     23
    .sgpr_spill_count: 0
    .symbol:         fft_rtc_fwd_len1440_factors_10_16_3_3_wgs_90_tpt_90_halfLds_sp_ip_CI_unitstride_sbrr_R2C_dirReg.kd
    .uniform_work_group_size: 1
    .uses_dynamic_stack: false
    .vgpr_count:     77
    .vgpr_spill_count: 0
    .wavefront_size: 32
    .workgroup_processor_mode: 1
amdhsa.target:   amdgcn-amd-amdhsa--gfx1030
amdhsa.version:
  - 1
  - 2
...

	.end_amdgpu_metadata
